;; amdgpu-corpus repo=zjin-lcf/HeCBench kind=compiled arch=gfx90a opt=O3
	.text
	.amdgcn_target "amdgcn-amd-amdhsa--gfx90a"
	.amdhsa_code_object_version 6
	.protected	_Z13parallelMatchPcPKjiS_S1_PhP5State ; -- Begin function _Z13parallelMatchPcPKjiS_S1_PhP5State
	.globl	_Z13parallelMatchPcPKjiS_S1_PhP5State
	.p2align	8
	.type	_Z13parallelMatchPcPKjiS_S1_PhP5State,@function
_Z13parallelMatchPcPKjiS_S1_PhP5State:  ; @_Z13parallelMatchPcPKjiS_S1_PhP5State
; %bb.0:
	s_load_dwordx8 s[12:19], s[4:5], 0x18
	s_add_u32 flat_scratch_lo, s6, s9
	s_addc_u32 flat_scratch_hi, s7, 0
	s_add_u32 s0, s0, s9
	s_addc_u32 s1, s1, 0
	v_cmp_eq_u32_e32 vcc, 0, v0
	s_and_saveexec_b64 s[6:7], vcc
	s_cbranch_execz .LBB0_124
; %bb.1:
	s_waitcnt lgkmcnt(0)
	s_load_dword s9, s[14:15], 0x0
	s_waitcnt lgkmcnt(0)
	v_mov_b32_e32 v1, s9
	global_load_ubyte v8, v1, s[12:13]
	s_add_u32 s10, s12, s9
	s_addc_u32 s11, s13, 0
	s_waitcnt vmcnt(0)
	v_cmp_eq_u16_e32 vcc, 0, v8
	s_cbranch_vccnz .LBB0_59
; %bb.2:
	s_mov_b64 s[12:13], 1
	v_mov_b32_e32 v1, 0
.LBB0_3:                                ; =>This Inner Loop Header: Depth=1
	s_add_u32 s14, s10, s12
	s_addc_u32 s15, s11, s13
	global_load_ubyte v2, v1, s[14:15]
	s_add_u32 s12, s12, 1
	s_addc_u32 s13, s13, 0
	s_waitcnt vmcnt(0)
	v_cmp_ne_u16_e32 vcc, 0, v2
	s_cbranch_vccnz .LBB0_3
; %bb.4:
	s_add_i32 s9, s12, -2
	s_cmpk_lt_u32 s9, 0xf9f
	s_cselect_b64 s[12:13], -1, 0
	s_and_b64 vcc, exec, s[12:13]
	s_cbranch_vccnz .LBB0_60
.LBB0_5:
.LBB0_6:
	v_mov_b32_e32 v5, 16
	s_mov_b32 s10, 0
	s_mov_b32 s24, 0
	s_mov_b64 s[12:13], src_shared_base
	v_mov_b32_e32 v2, 0
	v_bfrev_b32_e32 v4, 4.0
	v_mov_b32_e32 v6, 0x101
	s_mov_b32 s9, 0
	s_branch .LBB0_8
.LBB0_7:                                ;   in Loop: Header=BB0_8 Depth=1
	s_add_i32 s9, s9, 1
	s_mov_b32 s24, s25
	s_cbranch_execz .LBB0_54
.LBB0_8:                                ; =>This Loop Header: Depth=1
                                        ;     Child Loop BB0_14 Depth 2
                                        ;     Child Loop BB0_33 Depth 2
	;; [unrolled: 1-line block ×5, first 2 shown]
	v_mov_b32_e32 v3, s9
	ds_read_u8 v16, v3
	v_mov_b32_e32 v1, v5
	s_waitcnt lgkmcnt(0)
	v_cmp_gt_i16_e32 vcc, 3, v16
	s_cbranch_vccnz .LBB0_16
; %bb.9:                                ;   in Loop: Header=BB0_8 Depth=1
	v_cmp_gt_i16_e32 vcc, 21, v16
	s_mov_b64 s[14:15], 0
	s_cbranch_vccnz .LBB0_17
; %bb.10:                               ;   in Loop: Header=BB0_8 Depth=1
	v_cmp_lt_i16_e32 vcc, 26, v16
	s_cbranch_vccz .LBB0_18
; %bb.11:                               ;   in Loop: Header=BB0_8 Depth=1
	v_cmp_eq_u16_e32 vcc, 27, v16
	s_cbranch_vccz .LBB0_20
; %bb.12:                               ;   in Loop: Header=BB0_8 Depth=1
	v_subrev_u32_e32 v7, 24, v1
	v_add_u32_e32 v5, -8, v1
	v_subrev_u32_e32 v3, 32, v1
	buffer_load_dword v8, v7, s[0:3], 0 offen
	buffer_load_dword v9, v7, s[0:3], 0 offen offset:4
	buffer_load_dword v12, v5, s[0:3], 0 offen
	buffer_load_dword v13, v5, s[0:3], 0 offen offset:4
	;; [unrolled: 2-line block ×3, first 2 shown]
	v_add_u32_e32 v5, -16, v1
	s_waitcnt vmcnt(0)
	v_cmp_ne_u64_e32 vcc, 0, v[8:9]
	s_and_saveexec_b64 s[20:21], vcc
	s_cbranch_execz .LBB0_15
; %bb.13:                               ;   in Loop: Header=BB0_8 Depth=1
	buffer_load_dword v10, v5, s[0:3], 0 offen
	buffer_load_dword v11, v5, s[0:3], 0 offen offset:4
	s_mov_b64 s[22:23], 0
.LBB0_14:                               ;   Parent Loop BB0_8 Depth=1
                                        ; =>  This Inner Loop Header: Depth=2
	flat_load_dwordx2 v[18:19], v[8:9]
	s_waitcnt vmcnt(0) lgkmcnt(0)
	v_cmp_eq_u64_e32 vcc, 0, v[18:19]
	flat_store_dwordx2 v[8:9], v[10:11]
	s_or_b64 s[22:23], vcc, s[22:23]
	v_pk_mov_b32 v[8:9], v[18:19], v[18:19] op_sel:[0,1]
	s_andn2_b64 exec, exec, s[22:23]
	s_cbranch_execnz .LBB0_14
.LBB0_15:                               ;   in Loop: Header=BB0_8 Depth=1
	s_or_b64 exec, exec, s[20:21]
	s_mov_b64 s[20:21], 0
	s_waitcnt vmcnt(0)
	buffer_store_dword v15, v3, s[0:3], 0 offen offset:4
	buffer_store_dword v14, v3, s[0:3], 0 offen
	buffer_store_dword v13, v7, s[0:3], 0 offen offset:4
	buffer_store_dword v12, v7, s[0:3], 0 offen
	s_branch .LBB0_21
.LBB0_16:                               ;   in Loop: Header=BB0_8 Depth=1
	s_mov_b64 s[14:15], 0
                                        ; implicit-def: $vgpr5
                                        ; implicit-def: $sgpr25
	s_branch .LBB0_40
.LBB0_17:                               ;   in Loop: Header=BB0_8 Depth=1
	s_mov_b64 s[20:21], 0
                                        ; implicit-def: $vgpr5
                                        ; implicit-def: $sgpr25
	s_cbranch_execz .LBB0_24
	s_branch .LBB0_26
.LBB0_18:                               ;   in Loop: Header=BB0_8 Depth=1
	s_mov_b64 s[20:21], 0
                                        ; implicit-def: $vgpr5
                                        ; implicit-def: $sgpr25
	s_cbranch_execnz .LBB0_22
.LBB0_19:                               ;   in Loop: Header=BB0_8 Depth=1
	s_branch .LBB0_24
.LBB0_20:                               ;   in Loop: Header=BB0_8 Depth=1
	s_mov_b64 s[20:21], -1
                                        ; implicit-def: $vgpr5
.LBB0_21:                               ;   in Loop: Header=BB0_8 Depth=1
	s_mov_b32 s25, s24
	s_branch .LBB0_19
.LBB0_22:                               ;   in Loop: Header=BB0_8 Depth=1
	v_cmp_eq_u16_e32 vcc, 21, v16
	s_cbranch_vccz .LBB0_25
; %bb.23:                               ;   in Loop: Header=BB0_8 Depth=1
	s_mul_i32 s11, s24, 40
	v_mov_b32_e32 v7, s11
	s_add_i32 s12, s11, 0x1f40
	v_mov_b32_e32 v5, s24
	s_add_i32 s22, s11, 0x1f48
	v_mov_b32_e32 v3, v2
	v_add_u32_e32 v8, 0x1800, v7
	s_mov_b32 s11, s10
	s_mov_b32 s20, s10
	;; [unrolled: 1-line block ×3, first 2 shown]
	ds_write_b32 v7, v2 offset:8032
	ds_write2_b64 v8, v[4:5], v[2:3] offset0:232 offset1:235
	ds_write_b8 v7, v2 offset:8036
	v_mov_b32_e32 v3, s22
	v_pk_mov_b32 v[8:9], s[10:11], s[10:11] op_sel:[0,1]
	v_pk_mov_b32 v[10:11], s[20:21], s[20:21] op_sel:[0,1]
	ds_write2_b64 v3, v[8:9], v[10:11] offset1:1
	v_mov_b32_e32 v7, s13
	v_mov_b32_e32 v8, s12
	s_add_i32 s25, s24, 1
	v_add_u32_e32 v5, 16, v1
	buffer_store_dword v7, v1, s[0:3], 0 offen offset:4
	buffer_store_dword v8, v1, s[0:3], 0 offen
	buffer_store_dword v7, v1, s[0:3], 0 offen offset:12
	buffer_store_dword v3, v1, s[0:3], 0 offen offset:8
	s_mov_b64 s[20:21], 0
.LBB0_24:                               ;   in Loop: Header=BB0_8 Depth=1
	s_mov_b64 s[22:23], 0
	s_and_b64 vcc, exec, s[20:21]
	s_cbranch_vccnz .LBB0_29
	s_branch .LBB0_30
.LBB0_25:                               ;   in Loop: Header=BB0_8 Depth=1
	s_mov_b64 s[20:21], -1
                                        ; implicit-def: $vgpr5
                                        ; implicit-def: $sgpr25
	s_branch .LBB0_24
.LBB0_26:                               ;   in Loop: Header=BB0_8 Depth=1
	v_cmp_lt_i16_e32 vcc, 3, v16
	s_cbranch_vccz .LBB0_28
; %bb.27:                               ;   in Loop: Header=BB0_8 Depth=1
	v_cmp_ne_u16_e64 s[20:21], 4, v16
	s_mov_b64 s[22:23], -1
	s_mov_b64 s[14:15], 0
                                        ; implicit-def: $vgpr5
                                        ; implicit-def: $sgpr25
	s_and_b64 vcc, exec, s[20:21]
	s_cbranch_vccnz .LBB0_29
	s_branch .LBB0_30
.LBB0_28:                               ;   in Loop: Header=BB0_8 Depth=1
	s_mov_b64 s[22:23], 0
	s_mov_b64 s[14:15], -1
                                        ; implicit-def: $vgpr5
                                        ; implicit-def: $sgpr25
	s_and_b64 vcc, exec, s[20:21]
	s_cbranch_vccz .LBB0_30
.LBB0_29:                               ;   in Loop: Header=BB0_8 Depth=1
	s_mul_i32 s11, s24, 40
	v_mov_b32_e32 v5, s11
	v_bfe_i32 v8, v16, 0, 8
	s_add_i32 s12, s11, 0x1f40
	v_mov_b32_e32 v9, s24
	s_add_i32 s22, s11, 0x1f48
	v_mov_b32_e32 v3, v2
	v_add_u32_e32 v7, 0x1800, v5
	s_mov_b32 s11, s10
	s_mov_b32 s20, s10
	;; [unrolled: 1-line block ×3, first 2 shown]
	ds_write_b32 v5, v2 offset:8032
	ds_write2_b64 v7, v[8:9], v[2:3] offset0:232 offset1:235
	ds_write_b8 v5, v2 offset:8036
	v_mov_b32_e32 v3, s22
	v_pk_mov_b32 v[8:9], s[10:11], s[10:11] op_sel:[0,1]
	v_pk_mov_b32 v[10:11], s[20:21], s[20:21] op_sel:[0,1]
	s_add_i32 s25, s24, 1
	ds_write2_b64 v3, v[8:9], v[10:11] offset1:1
	v_add_u32_e32 v5, 16, v1
	v_mov_b32_e32 v7, s13
	v_mov_b32_e32 v8, s12
	s_mov_b64 s[22:23], 0
	buffer_store_dword v7, v1, s[0:3], 0 offen offset:4
	buffer_store_dword v8, v1, s[0:3], 0 offen
	buffer_store_dword v7, v1, s[0:3], 0 offen offset:12
	buffer_store_dword v3, v1, s[0:3], 0 offen offset:8
.LBB0_30:                               ;   in Loop: Header=BB0_8 Depth=1
	s_andn2_b64 vcc, exec, s[22:23]
	s_cbranch_vccz .LBB0_32
; %bb.31:                               ;   in Loop: Header=BB0_8 Depth=1
	s_and_b64 vcc, exec, s[14:15]
	s_cbranch_vccnz .LBB0_35
	s_branch .LBB0_39
.LBB0_32:                               ;   in Loop: Header=BB0_8 Depth=1
	v_add_u32_e32 v5, -16, v1
	v_subrev_u32_e32 v17, 32, v1
	buffer_load_dword v13, v5, s[0:3], 0 offen offset:4
	v_add_u32_e32 v3, -8, v1
	v_subrev_u32_e32 v18, 24, v1
	buffer_load_dword v14, v17, s[0:3], 0 offen
	buffer_load_dword v15, v17, s[0:3], 0 offen offset:4
	buffer_load_dword v8, v18, s[0:3], 0 offen
	buffer_load_dword v12, v5, s[0:3], 0 offen
	buffer_load_dword v9, v18, s[0:3], 0 offen offset:4
	buffer_load_dword v10, v3, s[0:3], 0 offen
	buffer_load_dword v11, v3, s[0:3], 0 offen offset:4
	s_mul_i32 s12, s24, 40
	v_mov_b32_e32 v3, v2
	s_add_i32 s11, s12, 0x1f40
	v_mov_b32_e32 v19, s12
	s_addk_i32 s12, 0x1f48
	v_mov_b32_e32 v7, s24
	s_mov_b64 s[20:21], 0
	ds_write_b32 v19, v2 offset:8032
	v_mov_b32_e32 v20, s12
	v_add_u32_e32 v21, 0x1800, v19
	ds_write_b8 v19, v2 offset:8036
	ds_write2_b64 v21, v[6:7], v[2:3] offset0:232 offset1:235
	s_waitcnt vmcnt(0)
	ds_write2_b64 v20, v[14:15], v[12:13] offset1:1
	v_pk_mov_b32 v[14:15], v[8:9], v[8:9] op_sel:[0,1]
.LBB0_33:                               ;   Parent Loop BB0_8 Depth=1
                                        ; =>  This Inner Loop Header: Depth=2
	v_pk_mov_b32 v[12:13], v[14:15], v[14:15] op_sel:[0,1]
	flat_load_dwordx2 v[14:15], v[14:15]
	s_waitcnt vmcnt(0) lgkmcnt(0)
	v_cmp_eq_u64_e32 vcc, 0, v[14:15]
	s_or_b64 s[20:21], vcc, s[20:21]
	s_andn2_b64 exec, exec, s[20:21]
	s_cbranch_execnz .LBB0_33
; %bb.34:                               ;   in Loop: Header=BB0_8 Depth=1
	s_or_b64 exec, exec, s[20:21]
	v_mov_b32_e32 v3, s13
	s_add_i32 s25, s24, 1
	flat_store_dwordx2 v[12:13], v[10:11]
	buffer_store_dword v3, v17, s[0:3], 0 offen offset:4
	v_mov_b32_e32 v3, s11
	buffer_store_dword v3, v17, s[0:3], 0 offen
	buffer_store_dword v9, v18, s[0:3], 0 offen offset:4
	buffer_store_dword v8, v18, s[0:3], 0 offen
	s_and_b64 vcc, exec, s[14:15]
	s_cbranch_vccz .LBB0_39
.LBB0_35:                               ;   in Loop: Header=BB0_8 Depth=1
	v_add_u32_e32 v10, -16, v1
	v_add_u32_e32 v5, -8, v1
	buffer_load_dword v12, v10, s[0:3], 0 offen
	buffer_load_dword v13, v10, s[0:3], 0 offen offset:4
	buffer_load_dword v8, v5, s[0:3], 0 offen
	buffer_load_dword v9, v5, s[0:3], 0 offen offset:4
	s_mul_i32 s11, s24, 40
	v_mov_b32_e32 v3, v2
	s_add_i32 s12, s11, 0x1f40
	v_mov_b32_e32 v11, s11
	s_addk_i32 s11, 0x1f48
	v_mov_b32_e32 v7, s24
	ds_write_b32 v11, v2 offset:8032
	v_mov_b32_e32 v14, s11
	v_add_u32_e32 v15, 0x1800, v11
	ds_write_b8 v11, v2 offset:8036
	s_waitcnt vmcnt(0)
	ds_write2_b64 v14, v[12:13], v[2:3] offset1:1
	ds_write2_b64 v15, v[6:7], v[2:3] offset0:232 offset1:235
	v_cmp_ne_u64_e32 vcc, 0, v[8:9]
	s_and_saveexec_b64 s[14:15], vcc
	s_cbranch_execz .LBB0_38
; %bb.36:                               ;   in Loop: Header=BB0_8 Depth=1
	s_mov_b64 s[20:21], 0
.LBB0_37:                               ;   Parent Loop BB0_8 Depth=1
                                        ; =>  This Inner Loop Header: Depth=2
	flat_load_dwordx2 v[12:13], v[8:9]
	v_pk_mov_b32 v[14:15], s[12:13], s[12:13] op_sel:[0,1]
	flat_store_dwordx2 v[8:9], v[14:15]
	s_waitcnt vmcnt(0) lgkmcnt(0)
	v_cmp_eq_u64_e32 vcc, 0, v[12:13]
	s_or_b64 s[20:21], vcc, s[20:21]
	v_pk_mov_b32 v[8:9], v[12:13], v[12:13] op_sel:[0,1]
	s_andn2_b64 exec, exec, s[20:21]
	s_cbranch_execnz .LBB0_37
.LBB0_38:                               ;   in Loop: Header=BB0_8 Depth=1
	s_or_b64 exec, exec, s[14:15]
	v_mov_b32_e32 v3, v2
	v_mov_b32_e32 v7, s12
	ds_write_b64 v7, v[2:3] offset:16
	v_mov_b32_e32 v3, s13
	buffer_store_dword v3, v10, s[0:3], 0 offen offset:4
	v_mov_b32_e32 v3, s12
	s_add_i32 s11, s12, 16
	buffer_store_dword v3, v10, s[0:3], 0 offen
	v_mov_b32_e32 v3, s13
	buffer_store_dword v3, v5, s[0:3], 0 offen offset:4
	v_mov_b32_e32 v3, s11
	s_add_i32 s25, s24, 1
	buffer_store_dword v3, v5, s[0:3], 0 offen
	v_mov_b32_e32 v5, v1
.LBB0_39:                               ;   in Loop: Header=BB0_8 Depth=1
	s_mov_b64 s[14:15], -1
	s_cbranch_execnz .LBB0_52
.LBB0_40:                               ;   in Loop: Header=BB0_8 Depth=1
	v_cmp_lt_i16_e32 vcc, 0, v16
                                        ; implicit-def: $sgpr25
	s_cbranch_vccz .LBB0_51
; %bb.41:                               ;   in Loop: Header=BB0_8 Depth=1
	v_cmp_lt_i16_e32 vcc, 1, v16
	v_add_u32_e32 v14, -16, v1
	v_add_u32_e32 v5, -8, v1
	s_mul_i32 s11, s24, 40
	s_cbranch_vccz .LBB0_45
; %bb.42:                               ;   in Loop: Header=BB0_8 Depth=1
	buffer_load_dword v10, v14, s[0:3], 0 offen
	buffer_load_dword v11, v14, s[0:3], 0 offen offset:4
	buffer_load_dword v8, v5, s[0:3], 0 offen
	buffer_load_dword v9, v5, s[0:3], 0 offen offset:4
	v_mov_b32_e32 v12, s11
	s_add_i32 s20, s11, 0x1f48
	v_mov_b32_e32 v7, s24
	v_mov_b32_e32 v3, v2
	ds_write_b32 v12, v2 offset:8032
	v_add_u32_e32 v13, 0x1800, v12
	ds_write_b8 v12, v2 offset:8036
	v_mov_b32_e32 v12, s20
	s_add_i32 s12, s11, 0x1f40
	s_mov_b64 s[14:15], 0
	ds_write2_b64 v13, v[6:7], v[2:3] offset0:232 offset1:235
	s_waitcnt vmcnt(0)
	ds_write2_b64 v12, v[10:11], v[2:3] offset1:1
	v_pk_mov_b32 v[12:13], v[8:9], v[8:9] op_sel:[0,1]
.LBB0_43:                               ;   Parent Loop BB0_8 Depth=1
                                        ; =>  This Inner Loop Header: Depth=2
	v_pk_mov_b32 v[10:11], v[12:13], v[12:13] op_sel:[0,1]
	flat_load_dwordx2 v[12:13], v[12:13]
	s_waitcnt vmcnt(0) lgkmcnt(0)
	v_cmp_eq_u64_e32 vcc, 0, v[12:13]
	s_or_b64 s[14:15], vcc, s[14:15]
	s_andn2_b64 exec, exec, s[14:15]
	s_cbranch_execnz .LBB0_43
; %bb.44:                               ;   in Loop: Header=BB0_8 Depth=1
	s_or_b64 exec, exec, s[14:15]
	s_add_i32 s14, s12, 16
	s_add_i32 s25, s24, 1
	v_mov_b32_e32 v12, s14
	v_mov_b32_e32 v13, s13
	;; [unrolled: 1-line block ×3, first 2 shown]
	flat_store_dwordx2 v[10:11], v[12:13]
	buffer_store_dword v13, v14, s[0:3], 0 offen offset:4
	buffer_store_dword v3, v14, s[0:3], 0 offen
	buffer_store_dword v9, v5, s[0:3], 0 offen offset:4
	buffer_store_dword v8, v5, s[0:3], 0 offen
	s_branch .LBB0_50
.LBB0_45:                               ;   in Loop: Header=BB0_8 Depth=1
                                        ; implicit-def: $sgpr25
	s_cbranch_execz .LBB0_50
; %bb.46:                               ;   in Loop: Header=BB0_8 Depth=1
	buffer_load_dword v8, v14, s[0:3], 0 offen
	buffer_load_dword v9, v14, s[0:3], 0 offen offset:4
	buffer_load_dword v10, v5, s[0:3], 0 offen
	buffer_load_dword v11, v5, s[0:3], 0 offen offset:4
	s_add_i32 s12, s11, 0x1f40
	v_mov_b32_e32 v12, s11
	s_addk_i32 s11, 0x1f48
	v_mov_b32_e32 v3, v2
	v_mov_b32_e32 v7, s24
	ds_write_b32 v12, v2 offset:8032
	v_mov_b32_e32 v13, s11
	v_add_u32_e32 v15, 0x1800, v12
	ds_write_b8 v12, v2 offset:8036
	s_waitcnt vmcnt(0)
	ds_write2_b64 v13, v[8:9], v[2:3] offset1:1
	ds_write2_b64 v15, v[6:7], v[2:3] offset0:232 offset1:235
	v_cmp_ne_u64_e32 vcc, 0, v[10:11]
	s_and_saveexec_b64 s[14:15], vcc
	s_cbranch_execz .LBB0_49
; %bb.47:                               ;   in Loop: Header=BB0_8 Depth=1
	s_mov_b64 s[20:21], 0
.LBB0_48:                               ;   Parent Loop BB0_8 Depth=1
                                        ; =>  This Inner Loop Header: Depth=2
	flat_load_dwordx2 v[12:13], v[10:11]
	v_pk_mov_b32 v[16:17], s[12:13], s[12:13] op_sel:[0,1]
	flat_store_dwordx2 v[10:11], v[16:17]
	s_waitcnt vmcnt(0) lgkmcnt(0)
	v_cmp_eq_u64_e32 vcc, 0, v[12:13]
	s_or_b64 s[20:21], vcc, s[20:21]
	v_pk_mov_b32 v[10:11], v[12:13], v[12:13] op_sel:[0,1]
	s_andn2_b64 exec, exec, s[20:21]
	s_cbranch_execnz .LBB0_48
.LBB0_49:                               ;   in Loop: Header=BB0_8 Depth=1
	s_or_b64 exec, exec, s[14:15]
	v_mov_b32_e32 v3, v2
	v_mov_b32_e32 v7, s12
	s_add_i32 s11, s12, 16
	ds_write_b64 v7, v[2:3] offset:16
	v_mov_b32_e32 v3, s13
	s_add_i32 s25, s24, 1
	buffer_store_dword v9, v14, s[0:3], 0 offen offset:4
	buffer_store_dword v8, v14, s[0:3], 0 offen
	buffer_store_dword v3, v5, s[0:3], 0 offen offset:4
	v_mov_b32_e32 v3, s11
	buffer_store_dword v3, v5, s[0:3], 0 offen
.LBB0_50:                               ;   in Loop: Header=BB0_8 Depth=1
	s_mov_b64 s[14:15], -1
.LBB0_51:                               ;   in Loop: Header=BB0_8 Depth=1
	v_mov_b32_e32 v5, v1
.LBB0_52:                               ;   in Loop: Header=BB0_8 Depth=1
	s_and_b64 vcc, exec, s[14:15]
	s_cbranch_vccnz .LBB0_7
; %bb.53:
                                        ; implicit-def: $sgpr9
                                        ; implicit-def: $vgpr5
                                        ; implicit-def: $sgpr25
	s_mov_b32 s24, s25
.LBB0_54:
	v_add_u32_e32 v2, -16, v1
	v_mov_b32_e32 v3, 16
	v_cmp_ne_u32_e32 vcc, v2, v3
	v_pk_mov_b32 v[2:3], 0, 0
	s_cbranch_vccnz .LBB0_123
; %bb.55:
	v_add_u32_e32 v1, -8, v1
	buffer_load_dword v5, v1, s[0:3], 0 offen offset:4
	buffer_load_dword v2, off, s[0:3], 0 offset:16
	buffer_load_dword v4, v1, s[0:3], 0 offen
	buffer_load_dword v3, off, s[0:3], 0 offset:20
	s_mov_b64 s[10:11], 0
	s_waitcnt vmcnt(0)
	v_cmp_ne_u64_e32 vcc, 0, v[4:5]
	s_and_saveexec_b64 s[12:13], vcc
	s_cbranch_execz .LBB0_58
; %bb.56:
	v_pk_mov_b32 v[6:7], s[18:19], s[18:19] op_sel:[0,1]
.LBB0_57:                               ; =>This Inner Loop Header: Depth=1
	flat_load_dwordx2 v[8:9], v[4:5]
	s_waitcnt vmcnt(0) lgkmcnt(0)
	v_cmp_eq_u64_e32 vcc, 0, v[8:9]
	flat_store_dwordx2 v[4:5], v[6:7]
	s_or_b64 s[10:11], vcc, s[10:11]
	v_pk_mov_b32 v[4:5], v[8:9], v[8:9] op_sel:[0,1]
	s_andn2_b64 exec, exec, s[10:11]
	s_cbranch_execnz .LBB0_57
.LBB0_58:
	s_or_b64 exec, exec, s[12:13]
	s_branch .LBB0_123
.LBB0_59:
	s_cbranch_execz .LBB0_5
.LBB0_60:
	s_mov_b32 s9, 0
	s_mov_b64 s[12:13], 0
	v_mov_b32_e32 v1, 0
	v_mov_b32_e32 v9, 0
	;; [unrolled: 1-line block ×10, first 2 shown]
                                        ; implicit-def: $sgpr14_sgpr15
	s_branch .LBB0_62
.LBB0_61:                               ;   in Loop: Header=BB0_62 Depth=1
	s_or_b64 exec, exec, s[26:27]
	s_and_b64 s[20:21], exec, s[24:25]
	s_or_b64 s[12:13], s[20:21], s[12:13]
	s_andn2_b64 s[14:15], s[14:15], exec
	s_and_b64 s[20:21], s[22:23], exec
	v_mov_b32_e32 v18, s9
	s_or_b64 s[14:15], s[14:15], s[20:21]
	v_mov_b32_e32 v11, v12
	s_waitcnt vmcnt(0)
	v_mov_b32_e32 v9, v15
	v_mov_b32_e32 v10, v13
	s_mov_b32 s9, s28
	s_andn2_b64 exec, exec, s[12:13]
	s_cbranch_execz .LBB0_109
.LBB0_62:                               ; =>This Loop Header: Depth=1
                                        ;     Child Loop BB0_96 Depth 2
                                        ;     Child Loop BB0_77 Depth 2
	;; [unrolled: 1-line block ×3, first 2 shown]
	v_cmp_lt_i16_sdwa s[20:21], v8, v4 src0_sel:BYTE_0 src1_sel:DWORD
	s_and_b64 vcc, exec, s[20:21]
	s_cbranch_vccnz .LBB0_70
; %bb.63:                               ;   in Loop: Header=BB0_62 Depth=1
	v_cmp_gt_i16_sdwa s[20:21], v8, v4 src0_sel:BYTE_0 src1_sel:DWORD
	s_and_b64 vcc, exec, s[20:21]
	s_cbranch_vccz .LBB0_71
; %bb.64:                               ;   in Loop: Header=BB0_62 Depth=1
	v_cmp_gt_i16_sdwa s[20:21], v8, v5 src0_sel:BYTE_0 src1_sel:DWORD
	s_and_b64 vcc, exec, s[20:21]
	s_cbranch_vccz .LBB0_72
; %bb.65:                               ;   in Loop: Header=BB0_62 Depth=1
	v_cmp_ne_u16_sdwa s[20:21], v8, v6 src0_sel:BYTE_0 src1_sel:DWORD
	s_and_b64 vcc, exec, s[20:21]
	s_cbranch_vccz .LBB0_73
; %bb.66:                               ;   in Loop: Header=BB0_62 Depth=1
	v_cmp_lt_i32_e32 vcc, 1, v10
	v_mov_b32_e32 v14, v11
	v_mov_b32_e32 v13, v10
	s_and_saveexec_b64 s[20:21], vcc
	s_cbranch_execz .LBB0_68
; %bb.67:                               ;   in Loop: Header=BB0_62 Depth=1
	v_add_u32_e32 v13, -1, v10
	v_add_u32_e32 v14, 1, v11
	ds_write_b8 v11, v7
.LBB0_68:                               ;   in Loop: Header=BB0_62 Depth=1
	s_or_b64 exec, exec, s[20:21]
	v_add_u32_e32 v12, 1, v14
	ds_write_b8 v14, v8
	v_add_u32_e32 v13, 1, v13
	s_mov_b64 s[20:21], -1
.LBB0_69:                               ;   in Loop: Header=BB0_62 Depth=1
                                        ; implicit-def: $sgpr22_sgpr23
                                        ; implicit-def: $vgpr14
                                        ; implicit-def: $vgpr16
                                        ; implicit-def: $vgpr17
	s_mov_b32 s28, s9
	v_mov_b32_e32 v15, v9
	s_branch .LBB0_85
.LBB0_70:                               ;   in Loop: Header=BB0_62 Depth=1
	s_mov_b64 s[20:21], 0
                                        ; implicit-def: $sgpr22_sgpr23
                                        ; implicit-def: $vgpr14
                                        ; implicit-def: $vgpr16
                                        ; implicit-def: $vgpr17
                                        ; implicit-def: $sgpr28
                                        ; implicit-def: $vgpr13
                                        ; implicit-def: $vgpr15
                                        ; implicit-def: $vgpr12
	s_cbranch_execnz .LBB0_101
	s_branch .LBB0_107
.LBB0_71:                               ;   in Loop: Header=BB0_62 Depth=1
	s_mov_b64 s[20:21], 0
                                        ; implicit-def: $sgpr22_sgpr23
                                        ; implicit-def: $vgpr14
                                        ; implicit-def: $vgpr16
                                        ; implicit-def: $vgpr17
                                        ; implicit-def: $sgpr28
                                        ; implicit-def: $vgpr13
                                        ; implicit-def: $vgpr15
                                        ; implicit-def: $vgpr12
	s_cbranch_execnz .LBB0_93
	s_branch .LBB0_100
.LBB0_72:                               ;   in Loop: Header=BB0_62 Depth=1
	s_mov_b64 s[20:21], 0
                                        ; implicit-def: $sgpr22_sgpr23
                                        ; implicit-def: $vgpr14
                                        ; implicit-def: $vgpr16
                                        ; implicit-def: $vgpr17
                                        ; implicit-def: $sgpr28
                                        ; implicit-def: $vgpr13
                                        ; implicit-def: $vgpr15
                                        ; implicit-def: $vgpr12
	s_cbranch_execnz .LBB0_86
	s_branch .LBB0_92
.LBB0_73:                               ;   in Loop: Header=BB0_62 Depth=1
	s_mov_b64 s[20:21], 0
                                        ; implicit-def: $vgpr13
                                        ; implicit-def: $vgpr12
	s_cbranch_execz .LBB0_69
; %bb.74:                               ;   in Loop: Header=BB0_62 Depth=1
	s_cmp_lg_u32 s9, 0
	s_cselect_b64 s[22:23], -1, 0
	v_cmp_ne_u32_e32 vcc, 0, v10
	s_and_b64 s[24:25], s[22:23], vcc
                                        ; implicit-def: $sgpr28
                                        ; implicit-def: $vgpr13
                                        ; implicit-def: $vgpr15
                                        ; implicit-def: $vgpr12
	s_and_saveexec_b64 s[22:23], s[24:25]
	s_cbranch_execz .LBB0_84
; %bb.75:                               ;   in Loop: Header=BB0_62 Depth=1
	v_cmp_lt_i32_e32 vcc, 1, v10
	v_mov_b32_e32 v12, v11
	s_and_saveexec_b64 s[24:25], vcc
	s_cbranch_execz .LBB0_79
; %bb.76:                               ;   in Loop: Header=BB0_62 Depth=1
	v_add_u32_e32 v13, 1, v10
	s_mov_b64 s[26:27], 0
	v_mov_b32_e32 v12, v11
.LBB0_77:                               ;   Parent Loop BB0_62 Depth=1
                                        ; =>  This Inner Loop Header: Depth=2
	v_add_u32_e32 v13, -1, v13
	v_mov_b32_e32 v14, v12
	v_cmp_gt_u32_e32 vcc, 3, v13
	v_add_u32_e32 v12, 1, v14
	s_or_b64 s[26:27], vcc, s[26:27]
	ds_write_b8 v14, v7
	s_andn2_b64 exec, exec, s[26:27]
	s_cbranch_execnz .LBB0_77
; %bb.78:                               ;   in Loop: Header=BB0_62 Depth=1
	s_or_b64 exec, exec, s[26:27]
.LBB0_79:                               ;   in Loop: Header=BB0_62 Depth=1
	s_or_b64 exec, exec, s[24:25]
	v_cmp_lt_i32_e32 vcc, 0, v9
	s_and_saveexec_b64 s[24:25], vcc
	s_cbranch_execz .LBB0_83
; %bb.80:                               ;   in Loop: Header=BB0_62 Depth=1
	v_add_u32_e32 v13, 1, v9
	s_mov_b64 s[26:27], 0
.LBB0_81:                               ;   Parent Loop BB0_62 Depth=1
                                        ; =>  This Inner Loop Header: Depth=2
	v_add_u32_e32 v13, -1, v13
	v_mov_b32_e32 v14, v12
	v_cmp_gt_u32_e32 vcc, 2, v13
	v_add_u32_e32 v12, 1, v14
	s_or_b64 s[26:27], vcc, s[26:27]
	ds_write_b8 v14, v4
	s_andn2_b64 exec, exec, s[26:27]
	s_cbranch_execnz .LBB0_81
; %bb.82:                               ;   in Loop: Header=BB0_62 Depth=1
	s_or_b64 exec, exec, s[26:27]
.LBB0_83:                               ;   in Loop: Header=BB0_62 Depth=1
	s_or_b64 exec, exec, s[24:25]
	v_add_u32_e32 v13, s9, v2
	s_add_i32 s28, s9, -8
	v_add_u32_e32 v13, -4, v13
	buffer_load_dword v13, v13, s[0:3], 0 offen
	v_add_u32_e32 v14, s28, v2
	buffer_load_dword v15, v14, s[0:3], 0 offen
	s_or_b64 s[20:21], s[20:21], exec
	s_waitcnt vmcnt(1)
	v_add_u32_e32 v13, 1, v13
.LBB0_84:                               ;   in Loop: Header=BB0_62 Depth=1
	s_or_b64 exec, exec, s[22:23]
	s_mov_b64 s[22:23], -1
	v_mov_b32_e32 v14, v11
	v_mov_b32_e32 v16, v9
	;; [unrolled: 1-line block ×3, first 2 shown]
.LBB0_85:                               ;   in Loop: Header=BB0_62 Depth=1
	s_branch .LBB0_92
.LBB0_86:                               ;   in Loop: Header=BB0_62 Depth=1
	v_cmp_lt_i32_e32 vcc, 1, v10
	v_mov_b32_e32 v12, v11
	v_mov_b32_e32 v13, v10
	s_and_saveexec_b64 s[22:23], vcc
	s_cbranch_execz .LBB0_88
; %bb.87:                               ;   in Loop: Header=BB0_62 Depth=1
	v_add_u32_e32 v13, -1, v10
	v_add_u32_e32 v12, 1, v11
	ds_write_b8 v11, v7
.LBB0_88:                               ;   in Loop: Header=BB0_62 Depth=1
	s_or_b64 exec, exec, s[22:23]
	s_cmpk_gt_i32 s9, 0x31f
	s_cbranch_scc1 .LBB0_90
; %bb.89:                               ;   in Loop: Header=BB0_62 Depth=1
	v_add_u32_e32 v14, s9, v2
	s_add_i32 s28, s9, 8
	s_mov_b32 s24, 0
	s_or_b64 s[20:21], s[20:21], exec
	buffer_store_dword v9, v14, s[0:3], 0 offen
	buffer_store_dword v13, v14, s[0:3], 0 offen offset:4
	s_branch .LBB0_91
.LBB0_90:                               ;   in Loop: Header=BB0_62 Depth=1
                                        ; implicit-def: $sgpr28
                                        ; implicit-def: $sgpr24
                                        ; implicit-def: $vgpr12
.LBB0_91:                               ;   in Loop: Header=BB0_62 Depth=1
	s_mov_b64 s[22:23], -1
	v_mov_b32_e32 v13, s24
	v_mov_b32_e32 v14, v11
	;; [unrolled: 1-line block ×4, first 2 shown]
	s_waitcnt vmcnt(0)
	v_mov_b32_e32 v15, s24
.LBB0_92:                               ;   in Loop: Header=BB0_62 Depth=1
	s_branch .LBB0_100
.LBB0_93:                               ;   in Loop: Header=BB0_62 Depth=1
	v_cmp_ne_u32_e32 vcc, 0, v10
                                        ; implicit-def: $vgpr13
                                        ; implicit-def: $vgpr15
                                        ; implicit-def: $vgpr12
	s_and_saveexec_b64 s[22:23], vcc
	s_cbranch_execz .LBB0_99
; %bb.94:                               ;   in Loop: Header=BB0_62 Depth=1
	v_add_u32_e32 v13, -1, v10
	v_cmp_lt_i32_e32 vcc, 1, v10
	v_mov_b32_e32 v12, v11
	s_and_saveexec_b64 s[24:25], vcc
	s_cbranch_execz .LBB0_98
; %bb.95:                               ;   in Loop: Header=BB0_62 Depth=1
	s_mov_b64 s[26:27], 0
	v_mov_b32_e32 v13, v10
	v_mov_b32_e32 v12, v11
.LBB0_96:                               ;   Parent Loop BB0_62 Depth=1
                                        ; =>  This Inner Loop Header: Depth=2
	v_add_u32_e32 v13, -1, v13
	v_mov_b32_e32 v14, v12
	v_cmp_gt_u32_e32 vcc, 2, v13
	v_add_u32_e32 v12, 1, v14
	s_or_b64 s[26:27], vcc, s[26:27]
	ds_write_b8 v14, v7
	s_andn2_b64 exec, exec, s[26:27]
	s_cbranch_execnz .LBB0_96
; %bb.97:                               ;   in Loop: Header=BB0_62 Depth=1
	s_or_b64 exec, exec, s[26:27]
	v_mov_b32_e32 v13, 0
.LBB0_98:                               ;   in Loop: Header=BB0_62 Depth=1
	s_or_b64 exec, exec, s[24:25]
	s_waitcnt vmcnt(0)
	v_add_u32_e32 v15, 1, v9
	s_or_b64 s[20:21], s[20:21], exec
.LBB0_99:                               ;   in Loop: Header=BB0_62 Depth=1
	s_or_b64 exec, exec, s[22:23]
	s_mov_b64 s[22:23], -1
	v_mov_b32_e32 v14, v11
	v_mov_b32_e32 v16, v9
	;; [unrolled: 1-line block ×3, first 2 shown]
	s_mov_b32 s28, s9
.LBB0_100:                              ;   in Loop: Header=BB0_62 Depth=1
	s_branch .LBB0_107
.LBB0_101:                              ;   in Loop: Header=BB0_62 Depth=1
	v_cmp_gt_i16_sdwa s[22:23], v8, v1 src0_sel:BYTE_0 src1_sel:DWORD
	s_and_b64 vcc, exec, s[22:23]
	s_cbranch_vccz .LBB0_105
; %bb.102:                              ;   in Loop: Header=BB0_62 Depth=1
	v_cmp_ne_u32_e32 vcc, 0, v10
                                        ; implicit-def: $vgpr12
	s_and_saveexec_b64 s[22:23], vcc
	s_cbranch_execz .LBB0_104
; %bb.103:                              ;   in Loop: Header=BB0_62 Depth=1
	v_add_u32_e32 v12, 1, v11
	ds_write_b8 v11, v8
	s_or_b64 s[20:21], s[20:21], exec
                                        ; implicit-def: $vgpr11
.LBB0_104:                              ;   in Loop: Header=BB0_62 Depth=1
	s_or_b64 exec, exec, s[22:23]
	s_mov_b64 s[22:23], -1
	s_mov_b32 s28, s9
	v_mov_b32_e32 v13, v10
	s_waitcnt vmcnt(0)
	v_mov_b32_e32 v15, v9
	s_branch .LBB0_106
.LBB0_105:                              ;   in Loop: Header=BB0_62 Depth=1
	s_mov_b64 s[22:23], 0
                                        ; implicit-def: $sgpr28
                                        ; implicit-def: $vgpr13
                                        ; implicit-def: $vgpr15
                                        ; implicit-def: $vgpr12
.LBB0_106:                              ;   in Loop: Header=BB0_62 Depth=1
	v_mov_b32_e32 v14, v11
	v_mov_b32_e32 v16, v9
	;; [unrolled: 1-line block ×3, first 2 shown]
.LBB0_107:                              ;   in Loop: Header=BB0_62 Depth=1
	s_mov_b64 s[24:25], -1
                                        ; implicit-def: $vgpr8
	s_and_saveexec_b64 s[26:27], s[20:21]
	s_cbranch_execz .LBB0_61
; %bb.108:                              ;   in Loop: Header=BB0_62 Depth=1
	global_load_ubyte v8, v3, s[10:11] offset:1
	s_add_u32 s10, s10, 1
	s_addc_u32 s11, s11, 0
	s_xor_b64 s[24:25], exec, -1
                                        ; implicit-def: $vgpr14
                                        ; implicit-def: $vgpr16
                                        ; implicit-def: $vgpr17
	s_branch .LBB0_61
.LBB0_109:
	s_or_b64 exec, exec, s[12:13]
	s_xor_b64 s[10:11], s[14:15], -1
	s_and_saveexec_b64 s[12:13], s[10:11]
	s_xor_b64 s[10:11], exec, s[12:13]
	s_cbranch_execz .LBB0_121
; %bb.110:
	v_cmp_eq_u32_e32 vcc, 0, v18
	s_and_saveexec_b64 s[12:13], vcc
	s_cbranch_execz .LBB0_120
; %bb.111:
	v_cmp_lt_i32_e32 vcc, 1, v17
	s_and_saveexec_b64 s[14:15], vcc
	s_cbranch_execz .LBB0_115
; %bb.112:
	v_add_u32_e32 v1, 1, v17
	s_mov_b64 s[20:21], 0
	v_mov_b32_e32 v2, 27
.LBB0_113:                              ; =>This Inner Loop Header: Depth=1
	v_add_u32_e32 v1, -1, v1
	v_mov_b32_e32 v3, v14
	v_cmp_gt_u32_e32 vcc, 3, v1
	v_add_u32_e32 v14, 1, v3
	s_or_b64 s[20:21], vcc, s[20:21]
	ds_write_b8 v3, v2
	s_andn2_b64 exec, exec, s[20:21]
	s_cbranch_execnz .LBB0_113
; %bb.114:
	s_or_b64 exec, exec, s[20:21]
.LBB0_115:
	s_or_b64 exec, exec, s[14:15]
	v_cmp_lt_i32_e32 vcc, 0, v16
	s_and_saveexec_b64 s[14:15], vcc
	s_cbranch_execz .LBB0_119
; %bb.116:
	v_add_u32_e32 v1, 1, v16
	s_mov_b64 s[20:21], 0
	v_mov_b32_e32 v2, 4
.LBB0_117:                              ; =>This Inner Loop Header: Depth=1
	v_add_u32_e32 v1, -1, v1
	v_mov_b32_e32 v3, v14
	v_cmp_gt_u32_e32 vcc, 2, v1
	v_add_u32_e32 v14, 1, v3
	s_or_b64 s[20:21], vcc, s[20:21]
	ds_write_b8 v3, v2
	s_andn2_b64 exec, exec, s[20:21]
	s_cbranch_execnz .LBB0_117
; %bb.118:
	s_or_b64 exec, exec, s[20:21]
.LBB0_119:
	s_or_b64 exec, exec, s[14:15]
	v_mov_b32_e32 v1, 0
	ds_write_b8 v14, v1
.LBB0_120:
	s_or_b64 exec, exec, s[12:13]
.LBB0_121:
	s_or_b64 exec, exec, s[10:11]
	s_branch .LBB0_6
; %bb.122:
	v_pk_mov_b32 v[2:3], 0, 0
.LBB0_123:
	v_mov_b32_e32 v1, 0
	ds_write_b64 v1, v[2:3] offset:12000
.LBB0_124:
	s_or_b64 exec, exec, s[6:7]
	s_waitcnt lgkmcnt(0)
	s_barrier
	s_load_dword s9, s[4:5], 0x44
	s_load_dword s28, s[4:5], 0x10
	s_add_u32 s6, s4, 56
	s_addc_u32 s7, s5, 0
	s_waitcnt lgkmcnt(0)
	s_and_b32 s12, s9, 0xffff
	s_mul_i32 s8, s8, s12
	v_add_u32_e32 v0, s8, v0
	v_cmp_gt_i32_e32 vcc, s28, v0
	s_and_saveexec_b64 s[8:9], vcc
	s_cbranch_execz .LBB0_158
; %bb.125:
	s_load_dword s29, s[6:7], 0x0
	s_load_dwordx4 s[8:11], s[4:5], 0x0
	v_mov_b32_e32 v8, 0
	ds_read_b64 v[2:3], v8 offset:12000
	s_mov_b64 s[4:5], 0
	s_waitcnt lgkmcnt(0)
	s_mul_i32 s29, s29, s12
	v_mov_b32_e32 v9, s11
	v_mov_b32_e32 v10, 16
	s_movk_i32 s11, 0x101
	v_mov_b32_e32 v11, 0x3e90
	v_mov_b32_e32 v12, s9
	s_movk_i32 s30, 0x102
	s_movk_i32 s31, 0x100
	s_branch .LBB0_128
.LBB0_126:                              ;   in Loop: Header=BB0_128 Depth=1
	s_or_b64 exec, exec, s[12:13]
.LBB0_127:                              ;   in Loop: Header=BB0_128 Depth=1
	s_or_b64 exec, exec, s[6:7]
	v_mov_b32_e32 v5, s17
	v_add_co_u32_e32 v6, vcc, s16, v0
	v_addc_co_u32_e32 v7, vcc, v5, v1, vcc
	v_add_u32_e32 v0, s29, v0
	v_cmp_le_i32_e32 vcc, s28, v0
	s_or_b64 s[4:5], vcc, s[4:5]
	global_store_byte v[6:7], v4, off
	s_andn2_b64 exec, exec, s[4:5]
	s_cbranch_execz .LBB0_158
.LBB0_128:                              ; =>This Loop Header: Depth=1
                                        ;     Child Loop BB0_131 Depth 2
                                        ;     Child Loop BB0_139 Depth 2
                                        ;       Child Loop BB0_143 Depth 3
                                        ;         Child Loop BB0_147 Depth 4
                                        ;     Child Loop BB0_156 Depth 2
	v_ashrrev_i32_e32 v1, 31, v0
	v_lshlrev_b64 v[4:5], 2, v[0:1]
	v_add_co_u32_e32 v4, vcc, s10, v4
	v_addc_co_u32_e32 v5, vcc, v9, v5, vcc
	global_load_dword v7, v[4:5], off
	v_mov_b32_e32 v15, 1
	s_mov_b64 s[6:7], 0
	v_mov_b32_e32 v13, 0
	v_mov_b32_e32 v6, 0
	buffer_store_dword v3, off, s[0:3], 0 offset:20
	buffer_store_dword v2, off, s[0:3], 0 offset:16
	s_branch .LBB0_131
.LBB0_129:                              ;   in Loop: Header=BB0_131 Depth=2
	s_or_b64 exec, exec, s[14:15]
	v_mov_b32_e32 v13, v17
.LBB0_130:                              ;   in Loop: Header=BB0_131 Depth=2
	s_or_b64 exec, exec, s[12:13]
	v_cmp_eq_u32_e32 vcc, 0, v14
	s_or_b64 s[6:7], vcc, s[6:7]
	v_mov_b32_e32 v15, v14
	s_andn2_b64 exec, exec, s[6:7]
	s_cbranch_execz .LBB0_136
.LBB0_131:                              ;   Parent Loop BB0_128 Depth=1
                                        ; =>  This Inner Loop Header: Depth=2
	v_add_u32_e32 v14, -1, v15
	v_lshl_add_u32 v16, v14, 3, v10
	buffer_load_dword v4, v16, s[0:3], 0 offen
	buffer_load_dword v5, v16, s[0:3], 0 offen offset:4
	s_waitcnt vmcnt(0)
	v_cmp_ne_u64_e32 vcc, 0, v[4:5]
	s_and_saveexec_b64 s[12:13], vcc
	s_cbranch_execz .LBB0_130
; %bb.132:                              ;   in Loop: Header=BB0_131 Depth=2
	flat_load_dword v17, v[4:5]
	s_waitcnt vmcnt(0) lgkmcnt(0)
	v_cmp_ne_u32_e32 vcc, s11, v17
	s_and_saveexec_b64 s[14:15], vcc
	s_xor_b64 s[14:15], exec, s[14:15]
	s_cbranch_execz .LBB0_134
; %bb.133:                              ;   in Loop: Header=BB0_131 Depth=2
	v_add_u32_e32 v13, 1, v6
	v_lshl_add_u32 v6, v6, 3, v11
	buffer_store_dword v5, v6, s[0:3], 0 offen offset:4
	buffer_store_dword v4, v6, s[0:3], 0 offen
	v_mov_b32_e32 v6, v13
                                        ; implicit-def: $vgpr4_vgpr5
                                        ; implicit-def: $vgpr16
                                        ; implicit-def: $vgpr15
                                        ; implicit-def: $vgpr13
.LBB0_134:                              ;   in Loop: Header=BB0_131 Depth=2
	s_or_saveexec_b64 s[14:15], s[14:15]
	v_mov_b32_e32 v17, v6
	s_xor_b64 exec, exec, s[14:15]
	s_cbranch_execz .LBB0_129
; %bb.135:                              ;   in Loop: Header=BB0_131 Depth=2
	flat_load_dwordx4 v[18:21], v[4:5] offset:8
	v_add_u32_e32 v14, 1, v15
	v_mov_b32_e32 v17, v13
	v_lshl_add_u32 v4, v15, 3, v10
	s_waitcnt vmcnt(0) lgkmcnt(0)
	buffer_store_dword v19, v16, s[0:3], 0 offen offset:4
	buffer_store_dword v18, v16, s[0:3], 0 offen
	buffer_store_dword v21, v4, s[0:3], 0 offen offset:4
	buffer_store_dword v20, v4, s[0:3], 0 offen
	s_branch .LBB0_129
.LBB0_136:                              ;   in Loop: Header=BB0_128 Depth=1
	s_or_b64 exec, exec, s[6:7]
	global_load_ubyte v14, v7, s[8:9]
	v_mov_b32_e32 v4, 0x3e90
	buffer_store_dword v13, v4, s[0:3], 0 offen offset:800
	v_mov_b32_e32 v13, 0x3e90
	s_waitcnt vmcnt(1)
	v_cmp_ne_u16_e32 vcc, 0, v14
	s_and_saveexec_b64 s[6:7], vcc
	s_cbranch_execz .LBB0_153
; %bb.137:                              ;   in Loop: Header=BB0_128 Depth=1
	v_add_co_u32_e32 v4, vcc, s8, v7
	v_addc_co_u32_e32 v5, vcc, 0, v12, vcc
	v_mov_b32_e32 v15, 0x3e90
	v_mov_b32_e32 v6, 0x41b8
	s_mov_b64 s[12:13], 0
	s_branch .LBB0_139
.LBB0_138:                              ;   in Loop: Header=BB0_139 Depth=2
	s_or_b64 exec, exec, s[14:15]
	global_load_ubyte v14, v[4:5], off offset:1
	v_add_co_u32_e32 v4, vcc, 1, v4
	v_addc_co_u32_e32 v5, vcc, 0, v5, vcc
	v_mov_b32_e32 v6, v15
	v_mov_b32_e32 v15, v13
	s_waitcnt vmcnt(0)
	v_cmp_eq_u16_e32 vcc, 0, v14
	s_or_b64 s[12:13], vcc, s[12:13]
	s_andn2_b64 exec, exec, s[12:13]
	s_cbranch_execz .LBB0_152
.LBB0_139:                              ;   Parent Loop BB0_128 Depth=1
                                        ; =>  This Loop Header: Depth=2
                                        ;       Child Loop BB0_143 Depth 3
                                        ;         Child Loop BB0_147 Depth 4
	buffer_load_dword v17, v15, s[0:3], 0 offen offset:800
	v_mov_b32_e32 v13, v6
	buffer_store_dword v8, v6, s[0:3], 0 offen offset:800
	s_waitcnt vmcnt(1)
	v_cmp_lt_i32_e32 vcc, 0, v17
	s_and_saveexec_b64 s[14:15], vcc
	s_cbranch_execz .LBB0_138
; %bb.140:                              ;   in Loop: Header=BB0_139 Depth=2
	s_mov_b32 s33, 0
	s_mov_b64 s[18:19], 0
	v_mov_b32_e32 v16, 0
	s_branch .LBB0_143
.LBB0_141:                              ;   in Loop: Header=BB0_143 Depth=3
	s_or_b64 exec, exec, s[22:23]
	buffer_load_dword v17, v15, s[0:3], 0 offen offset:800
.LBB0_142:                              ;   in Loop: Header=BB0_143 Depth=3
	s_or_b64 exec, exec, s[20:21]
	s_add_i32 s33, s33, 1
	s_waitcnt vmcnt(0)
	v_cmp_ge_i32_e32 vcc, s33, v17
	s_or_b64 s[18:19], vcc, s[18:19]
	s_andn2_b64 exec, exec, s[18:19]
	s_cbranch_execz .LBB0_138
.LBB0_143:                              ;   Parent Loop BB0_128 Depth=1
                                        ;     Parent Loop BB0_139 Depth=2
                                        ; =>    This Loop Header: Depth=3
                                        ;         Child Loop BB0_147 Depth 4
	s_lshl_b32 s20, s33, 3
	v_add_u32_e32 v18, s20, v15
	buffer_load_dword v6, v18, s[0:3], 0 offen
	buffer_load_dword v7, v18, s[0:3], 0 offen offset:4
	s_waitcnt vmcnt(0)
	flat_load_dword v18, v[6:7]
	s_waitcnt vmcnt(0) lgkmcnt(0)
	v_cmp_eq_u32_sdwa s[20:21], v18, v14 src0_sel:DWORD src1_sel:BYTE_0
	v_cmp_eq_u32_e32 vcc, s30, v18
	s_or_b64 s[22:23], s[20:21], vcc
	s_and_saveexec_b64 s[20:21], s[22:23]
	s_cbranch_execz .LBB0_142
; %bb.144:                              ;   in Loop: Header=BB0_143 Depth=3
	flat_load_dwordx2 v[6:7], v[6:7] offset:8
	s_mov_b64 s[22:23], 0
	v_mov_b32_e32 v18, 1
	s_waitcnt vmcnt(0) lgkmcnt(0)
	buffer_store_dword v7, off, s[0:3], 0 offset:20
	buffer_store_dword v6, off, s[0:3], 0 offset:16
	s_branch .LBB0_147
.LBB0_145:                              ;   in Loop: Header=BB0_147 Depth=4
	s_or_b64 exec, exec, s[26:27]
.LBB0_146:                              ;   in Loop: Header=BB0_147 Depth=4
	s_or_b64 exec, exec, s[24:25]
	v_cmp_eq_u32_e32 vcc, 0, v17
	s_or_b64 s[22:23], vcc, s[22:23]
	v_mov_b32_e32 v18, v17
	s_andn2_b64 exec, exec, s[22:23]
	s_cbranch_execz .LBB0_141
.LBB0_147:                              ;   Parent Loop BB0_128 Depth=1
                                        ;     Parent Loop BB0_139 Depth=2
                                        ;       Parent Loop BB0_143 Depth=3
                                        ; =>      This Inner Loop Header: Depth=4
	v_add_u32_e32 v17, -1, v18
	v_lshl_add_u32 v19, v17, 3, v10
	buffer_load_dword v6, v19, s[0:3], 0 offen
	buffer_load_dword v7, v19, s[0:3], 0 offen offset:4
	s_waitcnt vmcnt(0)
	v_cmp_ne_u64_e32 vcc, 0, v[6:7]
	s_and_saveexec_b64 s[24:25], vcc
	s_cbranch_execz .LBB0_146
; %bb.148:                              ;   in Loop: Header=BB0_147 Depth=4
	flat_load_dword v20, v[6:7]
	s_waitcnt vmcnt(0) lgkmcnt(0)
	v_cmp_ne_u32_e32 vcc, s11, v20
	s_and_saveexec_b64 s[26:27], vcc
	s_xor_b64 s[26:27], exec, s[26:27]
	s_cbranch_execz .LBB0_150
; %bb.149:                              ;   in Loop: Header=BB0_147 Depth=4
	v_add_u32_e32 v18, 1, v16
	v_lshl_add_u32 v16, v16, 3, v13
	buffer_store_dword v18, v13, s[0:3], 0 offen offset:800
	buffer_store_dword v7, v16, s[0:3], 0 offen offset:4
	buffer_store_dword v6, v16, s[0:3], 0 offen
	v_mov_b32_e32 v16, v18
                                        ; implicit-def: $vgpr6_vgpr7
                                        ; implicit-def: $vgpr19
                                        ; implicit-def: $vgpr18
.LBB0_150:                              ;   in Loop: Header=BB0_147 Depth=4
	s_andn2_saveexec_b64 s[26:27], s[26:27]
	s_cbranch_execz .LBB0_145
; %bb.151:                              ;   in Loop: Header=BB0_147 Depth=4
	flat_load_dwordx4 v[20:23], v[6:7] offset:8
	v_add_u32_e32 v17, 1, v18
	v_lshl_add_u32 v6, v18, 3, v10
	s_waitcnt vmcnt(0) lgkmcnt(0)
	buffer_store_dword v21, v19, s[0:3], 0 offen offset:4
	buffer_store_dword v20, v19, s[0:3], 0 offen
	buffer_store_dword v23, v6, s[0:3], 0 offen offset:4
	buffer_store_dword v22, v6, s[0:3], 0 offen
	s_branch .LBB0_145
.LBB0_152:                              ;   in Loop: Header=BB0_128 Depth=1
	s_or_b64 exec, exec, s[12:13]
	buffer_load_dword v6, v13, s[0:3], 0 offen offset:800
.LBB0_153:                              ;   in Loop: Header=BB0_128 Depth=1
	s_or_b64 exec, exec, s[6:7]
	s_waitcnt vmcnt(0)
	v_cmp_lt_i32_e32 vcc, 0, v6
	v_mov_b32_e32 v4, 0
	s_and_saveexec_b64 s[6:7], vcc
	s_cbranch_execz .LBB0_127
; %bb.154:                              ;   in Loop: Header=BB0_128 Depth=1
	s_mov_b64 s[12:13], 0
                                        ; implicit-def: $sgpr14_sgpr15
	s_branch .LBB0_156
.LBB0_155:                              ;   in Loop: Header=BB0_156 Depth=2
	s_or_b64 exec, exec, s[18:19]
	s_and_b64 s[18:19], exec, s[14:15]
	s_or_b64 s[12:13], s[18:19], s[12:13]
	s_andn2_b64 exec, exec, s[12:13]
	s_cbranch_execz .LBB0_126
.LBB0_156:                              ;   Parent Loop BB0_128 Depth=1
                                        ; =>  This Inner Loop Header: Depth=2
	buffer_load_dword v4, v13, s[0:3], 0 offen
	buffer_load_dword v5, v13, s[0:3], 0 offen offset:4
	s_or_b64 s[14:15], s[14:15], exec
	s_waitcnt vmcnt(0)
	flat_load_dword v5, v[4:5]
	v_mov_b32_e32 v4, 1
	s_waitcnt vmcnt(0) lgkmcnt(0)
	v_cmp_ne_u32_e32 vcc, s31, v5
	s_and_saveexec_b64 s[18:19], vcc
	s_cbranch_execz .LBB0_155
; %bb.157:                              ;   in Loop: Header=BB0_156 Depth=2
	v_add_u32_e32 v6, -1, v6
	v_cmp_eq_u32_e32 vcc, 0, v6
	s_andn2_b64 s[14:15], s[14:15], exec
	s_and_b64 s[20:21], vcc, exec
	v_add_u32_e32 v13, 8, v13
	v_mov_b32_e32 v4, 0
	s_or_b64 s[14:15], s[14:15], s[20:21]
	s_branch .LBB0_155
.LBB0_158:
	s_endpgm
	.section	.rodata,"a",@progbits
	.p2align	6, 0x0
	.amdhsa_kernel _Z13parallelMatchPcPKjiS_S1_PhP5State
		.amdhsa_group_segment_fixed_size 12008
		.amdhsa_private_segment_fixed_size 17632
		.amdhsa_kernarg_size 312
		.amdhsa_user_sgpr_count 8
		.amdhsa_user_sgpr_private_segment_buffer 1
		.amdhsa_user_sgpr_dispatch_ptr 0
		.amdhsa_user_sgpr_queue_ptr 0
		.amdhsa_user_sgpr_kernarg_segment_ptr 1
		.amdhsa_user_sgpr_dispatch_id 0
		.amdhsa_user_sgpr_flat_scratch_init 1
		.amdhsa_user_sgpr_kernarg_preload_length 0
		.amdhsa_user_sgpr_kernarg_preload_offset 0
		.amdhsa_user_sgpr_private_segment_size 0
		.amdhsa_uses_dynamic_stack 0
		.amdhsa_system_sgpr_private_segment_wavefront_offset 1
		.amdhsa_system_sgpr_workgroup_id_x 1
		.amdhsa_system_sgpr_workgroup_id_y 0
		.amdhsa_system_sgpr_workgroup_id_z 0
		.amdhsa_system_sgpr_workgroup_info 0
		.amdhsa_system_vgpr_workitem_id 0
		.amdhsa_next_free_vgpr 24
		.amdhsa_next_free_sgpr 34
		.amdhsa_accum_offset 24
		.amdhsa_reserve_vcc 1
		.amdhsa_reserve_flat_scratch 1
		.amdhsa_float_round_mode_32 0
		.amdhsa_float_round_mode_16_64 0
		.amdhsa_float_denorm_mode_32 3
		.amdhsa_float_denorm_mode_16_64 3
		.amdhsa_dx10_clamp 1
		.amdhsa_ieee_mode 1
		.amdhsa_fp16_overflow 0
		.amdhsa_tg_split 0
		.amdhsa_exception_fp_ieee_invalid_op 0
		.amdhsa_exception_fp_denorm_src 0
		.amdhsa_exception_fp_ieee_div_zero 0
		.amdhsa_exception_fp_ieee_overflow 0
		.amdhsa_exception_fp_ieee_underflow 0
		.amdhsa_exception_fp_ieee_inexact 0
		.amdhsa_exception_int_div_zero 0
	.end_amdhsa_kernel
	.text
.Lfunc_end0:
	.size	_Z13parallelMatchPcPKjiS_S1_PhP5State, .Lfunc_end0-_Z13parallelMatchPcPKjiS_S1_PhP5State
                                        ; -- End function
	.section	.AMDGPU.csdata,"",@progbits
; Kernel info:
; codeLenInByte = 4376
; NumSgprs: 40
; NumVgprs: 24
; NumAgprs: 0
; TotalNumVgprs: 24
; ScratchSize: 17632
; MemoryBound: 0
; FloatMode: 240
; IeeeMode: 1
; LDSByteSize: 12008 bytes/workgroup (compile time only)
; SGPRBlocks: 4
; VGPRBlocks: 2
; NumSGPRsForWavesPerEU: 40
; NumVGPRsForWavesPerEU: 24
; AccumOffset: 24
; Occupancy: 8
; WaveLimiterHint : 1
; COMPUTE_PGM_RSRC2:SCRATCH_EN: 1
; COMPUTE_PGM_RSRC2:USER_SGPR: 8
; COMPUTE_PGM_RSRC2:TRAP_HANDLER: 0
; COMPUTE_PGM_RSRC2:TGID_X_EN: 1
; COMPUTE_PGM_RSRC2:TGID_Y_EN: 0
; COMPUTE_PGM_RSRC2:TGID_Z_EN: 0
; COMPUTE_PGM_RSRC2:TIDIG_COMP_CNT: 0
; COMPUTE_PGM_RSRC3_GFX90A:ACCUM_OFFSET: 5
; COMPUTE_PGM_RSRC3_GFX90A:TG_SPLIT: 0
	.text
	.p2alignl 6, 3212836864
	.fill 256, 4, 3212836864
	.type	__hip_cuid_96a90525d4fddabc,@object ; @__hip_cuid_96a90525d4fddabc
	.section	.bss,"aw",@nobits
	.globl	__hip_cuid_96a90525d4fddabc
__hip_cuid_96a90525d4fddabc:
	.byte	0                               ; 0x0
	.size	__hip_cuid_96a90525d4fddabc, 1

	.ident	"AMD clang version 19.0.0git (https://github.com/RadeonOpenCompute/llvm-project roc-6.4.0 25133 c7fe45cf4b819c5991fe208aaa96edf142730f1d)"
	.section	".note.GNU-stack","",@progbits
	.addrsig
	.addrsig_sym __hip_cuid_96a90525d4fddabc
	.amdgpu_metadata
---
amdhsa.kernels:
  - .agpr_count:     0
    .args:
      - .address_space:  global
        .offset:         0
        .size:           8
        .value_kind:     global_buffer
      - .address_space:  global
        .offset:         8
        .size:           8
        .value_kind:     global_buffer
      - .offset:         16
        .size:           4
        .value_kind:     by_value
      - .address_space:  global
        .offset:         24
        .size:           8
        .value_kind:     global_buffer
      - .address_space:  global
        .offset:         32
        .size:           8
        .value_kind:     global_buffer
      - .address_space:  global
        .offset:         40
        .size:           8
        .value_kind:     global_buffer
      - .address_space:  global
        .offset:         48
        .size:           8
        .value_kind:     global_buffer
      - .offset:         56
        .size:           4
        .value_kind:     hidden_block_count_x
      - .offset:         60
        .size:           4
        .value_kind:     hidden_block_count_y
      - .offset:         64
        .size:           4
        .value_kind:     hidden_block_count_z
      - .offset:         68
        .size:           2
        .value_kind:     hidden_group_size_x
      - .offset:         70
        .size:           2
        .value_kind:     hidden_group_size_y
      - .offset:         72
        .size:           2
        .value_kind:     hidden_group_size_z
      - .offset:         74
        .size:           2
        .value_kind:     hidden_remainder_x
      - .offset:         76
        .size:           2
        .value_kind:     hidden_remainder_y
      - .offset:         78
        .size:           2
        .value_kind:     hidden_remainder_z
      - .offset:         96
        .size:           8
        .value_kind:     hidden_global_offset_x
      - .offset:         104
        .size:           8
        .value_kind:     hidden_global_offset_y
      - .offset:         112
        .size:           8
        .value_kind:     hidden_global_offset_z
      - .offset:         120
        .size:           2
        .value_kind:     hidden_grid_dims
    .group_segment_fixed_size: 12008
    .kernarg_segment_align: 8
    .kernarg_segment_size: 312
    .language:       OpenCL C
    .language_version:
      - 2
      - 0
    .max_flat_workgroup_size: 1024
    .name:           _Z13parallelMatchPcPKjiS_S1_PhP5State
    .private_segment_fixed_size: 17632
    .sgpr_count:     40
    .sgpr_spill_count: 0
    .symbol:         _Z13parallelMatchPcPKjiS_S1_PhP5State.kd
    .uniform_work_group_size: 1
    .uses_dynamic_stack: false
    .vgpr_count:     24
    .vgpr_spill_count: 0
    .wavefront_size: 64
amdhsa.target:   amdgcn-amd-amdhsa--gfx90a
amdhsa.version:
  - 1
  - 2
...

	.end_amdgpu_metadata
